;; amdgpu-corpus repo=ROCm/rocFFT kind=compiled arch=gfx906 opt=O3
	.text
	.amdgcn_target "amdgcn-amd-amdhsa--gfx906"
	.amdhsa_code_object_version 6
	.protected	bluestein_single_fwd_len396_dim1_sp_op_CI_CI ; -- Begin function bluestein_single_fwd_len396_dim1_sp_op_CI_CI
	.globl	bluestein_single_fwd_len396_dim1_sp_op_CI_CI
	.p2align	8
	.type	bluestein_single_fwd_len396_dim1_sp_op_CI_CI,@function
bluestein_single_fwd_len396_dim1_sp_op_CI_CI: ; @bluestein_single_fwd_len396_dim1_sp_op_CI_CI
; %bb.0:
	s_load_dwordx4 s[0:3], s[4:5], 0x28
	v_mul_u32_u24_e32 v1, 0x5d2, v0
	v_add_u32_sdwa v54, s6, v1 dst_sel:DWORD dst_unused:UNUSED_PAD src0_sel:DWORD src1_sel:WORD_1
	v_mov_b32_e32 v55, 0
	s_waitcnt lgkmcnt(0)
	v_cmp_gt_u64_e32 vcc, s[0:1], v[54:55]
	s_and_saveexec_b64 s[0:1], vcc
	s_cbranch_execz .LBB0_23
; %bb.1:
	s_load_dwordx2 s[8:9], s[4:5], 0x0
	s_load_dwordx2 s[10:11], s[4:5], 0x38
	v_mov_b32_e32 v2, 44
	v_mul_lo_u16_sdwa v1, v1, v2 dst_sel:DWORD dst_unused:UNUSED_PAD src0_sel:WORD_1 src1_sel:DWORD
	v_sub_u16_e32 v64, v0, v1
	v_cmp_gt_u16_e32 vcc, 36, v64
	v_lshlrev_b32_e32 v63, 3, v64
	s_and_saveexec_b64 s[6:7], vcc
	s_cbranch_execz .LBB0_3
; %bb.2:
	s_load_dwordx2 s[0:1], s[4:5], 0x18
	s_waitcnt lgkmcnt(0)
	s_load_dwordx4 s[12:15], s[0:1], 0x0
	s_waitcnt lgkmcnt(0)
	v_mad_u64_u32 v[0:1], s[0:1], s14, v54, 0
	v_mad_u64_u32 v[2:3], s[0:1], s12, v64, 0
	;; [unrolled: 1-line block ×4, first 2 shown]
	v_mov_b32_e32 v1, v4
	v_lshlrev_b64 v[0:1], 3, v[0:1]
	v_mov_b32_e32 v3, v5
	v_mov_b32_e32 v6, s3
	v_lshlrev_b64 v[2:3], 3, v[2:3]
	v_add_co_u32_e64 v0, s[0:1], s2, v0
	v_addc_co_u32_e64 v1, s[0:1], v6, v1, s[0:1]
	v_add_co_u32_e64 v0, s[0:1], v0, v2
	v_addc_co_u32_e64 v1, s[0:1], v1, v3, s[0:1]
	s_mul_i32 s0, s13, 0x120
	s_mul_hi_u32 s1, s12, 0x120
	s_add_i32 s2, s1, s0
	s_mul_i32 s3, s12, 0x120
	v_mov_b32_e32 v3, s2
	v_add_co_u32_e64 v2, s[0:1], s3, v0
	v_addc_co_u32_e64 v3, s[0:1], v1, v3, s[0:1]
	global_load_dwordx2 v[4:5], v[0:1], off
	global_load_dwordx2 v[6:7], v[2:3], off
	global_load_dwordx2 v[8:9], v63, s[8:9]
	global_load_dwordx2 v[10:11], v63, s[8:9] offset:288
	global_load_dwordx2 v[12:13], v63, s[8:9] offset:576
	;; [unrolled: 1-line block ×7, first 2 shown]
	v_mov_b32_e32 v1, s2
	v_add_co_u32_e64 v0, s[0:1], s3, v2
	v_addc_co_u32_e64 v1, s[0:1], v3, v1, s[0:1]
	v_mov_b32_e32 v24, s2
	v_add_co_u32_e64 v2, s[0:1], s3, v0
	v_addc_co_u32_e64 v3, s[0:1], v1, v24, s[0:1]
	v_mov_b32_e32 v28, s2
	global_load_dwordx2 v[24:25], v[0:1], off
	global_load_dwordx2 v[26:27], v[2:3], off
	v_add_co_u32_e64 v0, s[0:1], s3, v2
	v_addc_co_u32_e64 v1, s[0:1], v3, v28, s[0:1]
	v_mov_b32_e32 v29, s2
	global_load_dwordx2 v[2:3], v[0:1], off
	v_add_co_u32_e64 v0, s[0:1], s3, v0
	v_addc_co_u32_e64 v1, s[0:1], v1, v29, s[0:1]
	v_mov_b32_e32 v30, s2
	;; [unrolled: 4-line block ×5, first 2 shown]
	global_load_dwordx2 v[34:35], v[0:1], off
	global_load_dwordx2 v[36:37], v63, s[8:9] offset:2304
	v_add_co_u32_e64 v0, s[0:1], s3, v0
	v_addc_co_u32_e64 v1, s[0:1], v1, v38, s[0:1]
	global_load_dwordx2 v[38:39], v[0:1], off
	global_load_dwordx2 v[40:41], v63, s[8:9] offset:2592
	v_mov_b32_e32 v42, s2
	v_add_co_u32_e64 v0, s[0:1], s3, v0
	v_addc_co_u32_e64 v1, s[0:1], v1, v42, s[0:1]
	global_load_dwordx2 v[42:43], v63, s[8:9] offset:2880
	global_load_dwordx2 v[44:45], v[0:1], off
	s_waitcnt vmcnt(19)
	v_mul_f32_e32 v0, v5, v9
	v_mul_f32_e32 v1, v4, v9
	v_fmac_f32_e32 v0, v4, v8
	s_waitcnt vmcnt(18)
	v_mul_f32_e32 v4, v6, v11
	v_fma_f32 v1, v5, v8, -v1
	v_fma_f32 v5, v7, v10, -v4
	v_mul_f32_e32 v4, v7, v11
	v_fmac_f32_e32 v4, v6, v10
	ds_write2_b64 v63, v[0:1], v[4:5] offset1:36
	s_waitcnt vmcnt(11)
	v_mul_f32_e32 v0, v25, v13
	v_mul_f32_e32 v1, v24, v13
	s_waitcnt vmcnt(10)
	v_mul_f32_e32 v4, v27, v15
	v_mul_f32_e32 v5, v26, v15
	v_fmac_f32_e32 v0, v24, v12
	v_fma_f32 v1, v25, v12, -v1
	v_fmac_f32_e32 v4, v26, v14
	v_fma_f32 v5, v27, v14, -v5
	ds_write2_b64 v63, v[0:1], v[4:5] offset0:72 offset1:108
	s_waitcnt vmcnt(9)
	v_mul_f32_e32 v0, v3, v17
	v_mul_f32_e32 v1, v2, v17
	v_fmac_f32_e32 v0, v2, v16
	v_fma_f32 v1, v3, v16, -v1
	s_waitcnt vmcnt(8)
	v_mul_f32_e32 v2, v29, v19
	v_mul_f32_e32 v3, v28, v19
	v_fmac_f32_e32 v2, v28, v18
	v_fma_f32 v3, v29, v18, -v3
	ds_write2_b64 v63, v[0:1], v[2:3] offset0:144 offset1:180
	v_add_u32_e32 v4, 0x800, v63
	s_waitcnt vmcnt(7)
	v_mul_f32_e32 v0, v31, v21
	v_mul_f32_e32 v1, v30, v21
	v_fmac_f32_e32 v0, v30, v20
	v_fma_f32 v1, v31, v20, -v1
	s_waitcnt vmcnt(6)
	v_mul_f32_e32 v2, v33, v23
	v_mul_f32_e32 v3, v32, v23
	v_fmac_f32_e32 v2, v32, v22
	v_fma_f32 v3, v33, v22, -v3
	ds_write2_b64 v63, v[0:1], v[2:3] offset0:216 offset1:252
	s_waitcnt vmcnt(4)
	v_mul_f32_e32 v0, v35, v37
	v_mul_f32_e32 v1, v34, v37
	v_fmac_f32_e32 v0, v34, v36
	v_fma_f32 v1, v35, v36, -v1
	s_waitcnt vmcnt(2)
	v_mul_f32_e32 v2, v39, v41
	v_mul_f32_e32 v3, v38, v41
	v_fmac_f32_e32 v2, v38, v40
	v_fma_f32 v3, v39, v40, -v3
	ds_write2_b64 v4, v[0:1], v[2:3] offset0:32 offset1:68
	s_waitcnt vmcnt(0)
	v_mul_f32_e32 v0, v45, v43
	v_mul_f32_e32 v1, v44, v43
	v_fmac_f32_e32 v0, v44, v42
	v_fma_f32 v1, v45, v42, -v1
	ds_write_b64 v63, v[0:1] offset:2880
.LBB0_3:
	s_or_b64 exec, exec, s[6:7]
	s_load_dwordx2 s[0:1], s[4:5], 0x20
	s_load_dwordx2 s[2:3], s[4:5], 0x8
	v_mov_b32_e32 v0, 0
	v_mov_b32_e32 v1, 0
	s_waitcnt lgkmcnt(0)
	; wave barrier
	s_waitcnt lgkmcnt(0)
                                        ; implicit-def: $vgpr6
                                        ; implicit-def: $vgpr20
                                        ; implicit-def: $vgpr18
                                        ; implicit-def: $vgpr14
                                        ; implicit-def: $vgpr10
	s_and_saveexec_b64 s[4:5], vcc
	s_cbranch_execz .LBB0_5
; %bb.4:
	ds_read2_b64 v[0:3], v63 offset1:36
	ds_read2_b64 v[8:11], v63 offset0:72 offset1:108
	ds_read2_b64 v[12:15], v63 offset0:144 offset1:180
	ds_read2_b64 v[4:7], v63 offset0:216 offset1:252
	v_add_u32_e32 v16, 0x800, v63
	ds_read2_b64 v[16:19], v16 offset0:32 offset1:68
	ds_read_b64 v[20:21], v63 offset:2880
.LBB0_5:
	s_or_b64 exec, exec, s[4:5]
	s_waitcnt lgkmcnt(0)
	v_sub_f32_e32 v48, v3, v21
	v_mul_f32_e32 v27, 0xbf0a6770, v48
	v_add_f32_e32 v22, v20, v2
	v_sub_f32_e32 v45, v2, v20
	v_mov_b32_e32 v24, v27
	v_add_f32_e32 v23, v21, v3
	s_mov_b32 s6, 0x3f575c64
	v_mul_f32_e32 v34, 0xbf0a6770, v45
	v_fmac_f32_e32 v24, 0x3f575c64, v22
	v_sub_f32_e32 v50, v9, v19
	v_add_f32_e32 v26, v24, v0
	v_fma_f32 v24, v23, s6, -v34
	v_mul_f32_e32 v35, 0xbf68dda4, v50
	v_add_f32_e32 v28, v24, v1
	v_add_f32_e32 v24, v18, v8
	v_sub_f32_e32 v47, v8, v18
	v_mov_b32_e32 v29, v35
	s_mov_b32 s7, 0x3ed4b147
	v_add_f32_e32 v25, v19, v9
	v_mul_f32_e32 v38, 0xbf68dda4, v47
	v_fmac_f32_e32 v29, 0x3ed4b147, v24
	v_sub_f32_e32 v53, v11, v17
	v_add_f32_e32 v29, v29, v26
	v_fma_f32 v26, v25, s7, -v38
	v_mul_f32_e32 v39, 0xbf7d64f0, v53
	v_add_f32_e32 v30, v26, v28
	v_add_f32_e32 v26, v16, v10
	v_sub_f32_e32 v49, v10, v16
	v_mov_b32_e32 v31, v39
	v_add_f32_e32 v28, v17, v11
	s_mov_b32 s12, 0xbe11bafb
	v_mul_f32_e32 v40, 0xbf7d64f0, v49
	v_fmac_f32_e32 v31, 0xbe11bafb, v26
	v_sub_f32_e32 v59, v13, v7
	v_add_f32_e32 v31, v31, v29
	v_fma_f32 v29, v28, s12, -v40
	v_mul_f32_e32 v42, 0xbf4178ce, v59
	v_add_f32_e32 v30, v29, v30
	v_add_f32_e32 v29, v6, v12
	v_mov_b32_e32 v32, v42
	v_sub_f32_e32 v56, v12, v6
	v_fmac_f32_e32 v32, 0xbf27a4f4, v29
	s_mov_b32 s13, 0xbf27a4f4
	v_add_f32_e32 v37, v7, v13
	v_mul_f32_e32 v43, 0xbf4178ce, v56
	v_sub_f32_e32 v69, v15, v5
	v_sub_f32_e32 v62, v14, v4
	v_add_f32_e32 v31, v32, v31
	v_fma_f32 v32, v37, s13, -v43
	s_mov_b32 s14, 0xbf75a155
	v_mul_f32_e32 v44, 0xbe903f40, v69
	v_add_f32_e32 v41, v5, v15
	v_mul_f32_e32 v46, 0xbe903f40, v62
	v_add_f32_e32 v30, v32, v30
	v_add_f32_e32 v36, v4, v14
	v_mov_b32_e32 v32, v44
	v_fma_f32 v33, v41, s14, -v46
	v_mul_f32_e32 v51, 0xbf68dda4, v48
	v_fmac_f32_e32 v32, 0xbf75a155, v36
	v_add_f32_e32 v33, v33, v30
	v_mov_b32_e32 v30, v51
	v_mul_f32_e32 v52, 0xbf4178ce, v50
	v_add_f32_e32 v32, v32, v31
	v_fmac_f32_e32 v30, 0x3ed4b147, v22
	v_mov_b32_e32 v31, v52
	v_add_f32_e32 v30, v30, v0
	v_fmac_f32_e32 v31, 0xbf27a4f4, v24
	v_mul_f32_e32 v60, 0xbf68dda4, v45
	v_add_f32_e32 v30, v31, v30
	v_fma_f32 v31, v23, s7, -v60
	v_mul_f32_e32 v61, 0xbf4178ce, v47
	v_add_f32_e32 v31, v31, v1
	v_fma_f32 v55, v25, s13, -v61
	v_add_f32_e32 v31, v55, v31
	v_mul_f32_e32 v55, 0x3e903f40, v53
	v_mov_b32_e32 v57, v55
	v_fmac_f32_e32 v57, 0xbf75a155, v26
	v_mul_f32_e32 v66, 0x3e903f40, v49
	v_add_f32_e32 v30, v57, v30
	v_fma_f32 v57, v28, s14, -v66
	v_add_f32_e32 v31, v57, v31
	v_mul_f32_e32 v57, 0x3f7d64f0, v59
	v_mov_b32_e32 v58, v57
	v_fmac_f32_e32 v58, 0xbe11bafb, v29
	v_mul_f32_e32 v67, 0x3f7d64f0, v56
	v_add_f32_e32 v30, v58, v30
	v_fma_f32 v58, v37, s12, -v67
	v_add_f32_e32 v31, v58, v31
	v_mul_f32_e32 v58, 0x3f0a6770, v69
	v_mov_b32_e32 v65, v58
	v_mul_f32_e32 v68, 0x3f0a6770, v62
	v_fmac_f32_e32 v65, 0x3f575c64, v36
	v_fma_f32 v70, v41, s6, -v68
	v_add_f32_e32 v30, v65, v30
	v_add_f32_e32 v31, v70, v31
	v_mul_lo_u16_e32 v65, 11, v64
	s_waitcnt lgkmcnt(0)
	; wave barrier
	s_and_saveexec_b64 s[4:5], vcc
	s_cbranch_execz .LBB0_7
; %bb.6:
	v_mul_f32_e32 v78, 0xbe11bafb, v23
	v_mov_b32_e32 v70, v78
	v_mul_f32_e32 v79, 0xbf75a155, v25
	v_fmac_f32_e32 v70, 0x3f7d64f0, v45
	v_mov_b32_e32 v71, v79
	v_add_f32_e32 v70, v70, v1
	v_fmac_f32_e32 v71, 0xbe903f40, v47
	v_mul_f32_e32 v80, 0x3ed4b147, v28
	v_add_f32_e32 v70, v71, v70
	v_mov_b32_e32 v71, v80
	v_fmac_f32_e32 v71, 0xbf68dda4, v49
	v_mul_f32_e32 v81, 0x3f575c64, v37
	v_add_f32_e32 v70, v71, v70
	v_mov_b32_e32 v71, v81
	;; [unrolled: 4-line block ×3, first 2 shown]
	v_mul_f32_e32 v83, 0x3e903f40, v50
	v_fmac_f32_e32 v71, 0xbe11bafb, v22
	v_mov_b32_e32 v72, v83
	v_add_f32_e32 v71, v71, v0
	v_fmac_f32_e32 v72, 0xbf75a155, v24
	v_mul_f32_e32 v84, 0x3f68dda4, v53
	v_add_f32_e32 v71, v72, v71
	v_mov_b32_e32 v72, v84
	v_fmac_f32_e32 v72, 0x3ed4b147, v26
	v_mul_f32_e32 v85, 0xbf0a6770, v59
	v_add_f32_e32 v71, v72, v71
	v_mov_b32_e32 v72, v85
	;; [unrolled: 4-line block ×5, first 2 shown]
	v_mul_f32_e32 v75, 0x3f575c64, v25
	v_fmac_f32_e32 v72, 0x3e903f40, v45
	v_mov_b32_e32 v73, v75
	v_add_f32_e32 v72, v72, v1
	v_fmac_f32_e32 v73, 0xbf0a6770, v47
	v_mul_f32_e32 v76, 0xbf27a4f4, v28
	v_add_f32_e32 v72, v73, v72
	v_mov_b32_e32 v73, v76
	v_fmac_f32_e32 v73, 0x3f4178ce, v49
	v_mul_f32_e32 v77, 0x3ed4b147, v37
	v_add_f32_e32 v72, v73, v72
	v_mov_b32_e32 v73, v77
	;; [unrolled: 4-line block ×3, first 2 shown]
	v_mul_f32_e32 v89, 0x3f0a6770, v50
	v_fmac_f32_e32 v73, 0xbf75a155, v22
	v_mov_b32_e32 v90, v89
	v_add_f32_e32 v73, v73, v0
	v_fmac_f32_e32 v90, 0x3f575c64, v24
	v_add_f32_e32 v73, v90, v73
	v_mul_f32_e32 v90, 0xbf4178ce, v53
	v_mov_b32_e32 v91, v90
	v_fmac_f32_e32 v91, 0xbf27a4f4, v26
	v_fmac_f32_e32 v74, 0xbe903f40, v45
	v_add_f32_e32 v73, v91, v73
	v_mul_f32_e32 v91, 0x3f68dda4, v59
	v_add_f32_e32 v74, v74, v1
	v_fmac_f32_e32 v75, 0x3f0a6770, v47
	v_mov_b32_e32 v92, v91
	v_add_f32_e32 v74, v75, v74
	v_fmac_f32_e32 v76, 0xbf4178ce, v49
	v_fma_f32 v75, v22, s14, -v88
	v_fmac_f32_e32 v92, 0x3ed4b147, v29
	v_mul_f32_e32 v93, 0xbe11bafb, v41
	v_add_f32_e32 v74, v76, v74
	v_add_f32_e32 v75, v75, v0
	v_fma_f32 v76, v24, s6, -v89
	v_add_f32_e32 v92, v92, v73
	v_mov_b32_e32 v73, v93
	v_fmac_f32_e32 v77, 0x3f68dda4, v56
	v_add_f32_e32 v75, v76, v75
	v_fma_f32 v76, v26, s13, -v90
	v_fmac_f32_e32 v73, 0x3f7d64f0, v62
	v_mul_f32_e32 v94, 0xbf7d64f0, v69
	v_add_f32_e32 v74, v77, v74
	v_add_f32_e32 v75, v76, v75
	v_fma_f32 v76, v29, s7, -v91
	v_fmac_f32_e32 v93, 0xbf7d64f0, v62
	v_add_f32_e32 v73, v73, v72
	v_mov_b32_e32 v72, v94
	v_add_f32_e32 v76, v76, v75
	v_add_f32_e32 v75, v93, v74
	v_fma_f32 v74, v36, s12, -v94
	v_mul_f32_e32 v88, 0xbf4178ce, v45
	v_fmac_f32_e32 v72, 0xbe11bafb, v36
	v_add_f32_e32 v74, v74, v76
	v_mov_b32_e32 v76, v88
	v_mul_f32_e32 v89, 0x3f7d64f0, v47
	v_add_f32_e32 v72, v72, v92
	v_fmac_f32_e32 v76, 0xbf27a4f4, v23
	v_mov_b32_e32 v77, v89
	v_mul_f32_e32 v92, 0xbf4178ce, v48
	v_add_f32_e32 v76, v76, v1
	v_fmac_f32_e32 v77, 0xbe11bafb, v25
	v_mul_f32_e32 v90, 0xbf0a6770, v49
	v_fma_f32 v48, v22, s13, -v92
	v_mul_f32_e32 v93, 0x3f7d64f0, v50
	v_add_f32_e32 v76, v77, v76
	v_mov_b32_e32 v77, v90
	v_add_f32_e32 v48, v48, v0
	v_fma_f32 v50, v24, s12, -v93
	v_mul_f32_e32 v53, 0xbf0a6770, v53
	v_fmac_f32_e32 v77, 0x3f575c64, v28
	v_mul_f32_e32 v91, 0xbe903f40, v56
	v_add_f32_e32 v48, v50, v48
	v_fma_f32 v50, v26, s6, -v53
	v_mul_f32_e32 v59, 0xbe903f40, v59
	v_add_f32_e32 v76, v77, v76
	v_mov_b32_e32 v77, v91
	v_add_f32_e32 v48, v50, v48
	v_fma_f32 v50, v29, s14, -v59
	v_mul_f32_e32 v94, 0x3f68dda4, v62
	v_fmac_f32_e32 v77, 0xbf75a155, v37
	v_add_f32_e32 v48, v50, v48
	v_mov_b32_e32 v50, v94
	v_add_f32_e32 v76, v77, v76
	v_fmac_f32_e32 v50, 0x3ed4b147, v41
	v_mul_f32_e32 v69, 0x3f68dda4, v69
	v_fmac_f32_e32 v78, 0xbf7d64f0, v45
	v_add_f32_e32 v77, v50, v76
	v_fma_f32 v50, v36, s7, -v69
	v_fmac_f32_e32 v79, 0x3e903f40, v47
	v_add_f32_e32 v45, v78, v1
	v_fma_f32 v47, v22, s12, -v82
	v_add_f32_e32 v76, v50, v48
	v_add_f32_e32 v45, v79, v45
	v_fmac_f32_e32 v80, 0x3f68dda4, v49
	v_add_f32_e32 v47, v47, v0
	v_fma_f32 v48, v24, s14, -v83
	v_add_f32_e32 v45, v80, v45
	v_fmac_f32_e32 v81, 0xbf0a6770, v56
	v_add_f32_e32 v47, v48, v47
	v_fma_f32 v48, v26, s7, -v84
	;; [unrolled: 4-line block ×3, first 2 shown]
	v_add_f32_e32 v47, v48, v47
	v_add_f32_e32 v48, v86, v45
	v_fma_f32 v45, v36, s13, -v87
	v_add_f32_e32 v47, v45, v47
	v_mul_f32_e32 v45, 0x3ed4b147, v23
	v_add_f32_e32 v45, v60, v45
	v_mul_f32_e32 v49, 0xbf27a4f4, v25
	v_mul_f32_e32 v50, 0x3ed4b147, v22
	v_add_f32_e32 v49, v61, v49
	v_add_f32_e32 v45, v45, v1
	v_sub_f32_e32 v50, v50, v51
	v_mul_f32_e32 v51, 0xbf27a4f4, v24
	v_add_f32_e32 v45, v49, v45
	v_mul_f32_e32 v49, 0xbf75a155, v28
	v_sub_f32_e32 v51, v51, v52
	v_add_f32_e32 v50, v50, v0
	v_add_f32_e32 v49, v66, v49
	;; [unrolled: 1-line block ×3, first 2 shown]
	v_mul_f32_e32 v51, 0xbf75a155, v26
	v_add_f32_e32 v45, v49, v45
	v_mul_f32_e32 v49, 0xbe11bafb, v37
	v_sub_f32_e32 v51, v51, v55
	v_add_f32_e32 v49, v67, v49
	v_add_f32_e32 v50, v51, v50
	v_mul_f32_e32 v51, 0xbe11bafb, v29
	v_add_f32_e32 v45, v49, v45
	v_mul_f32_e32 v49, 0x3f575c64, v41
	v_mul_f32_e32 v52, 0x3f575c64, v23
	v_sub_f32_e32 v51, v51, v57
	v_add_f32_e32 v2, v2, v0
	v_add_f32_e32 v49, v68, v49
	v_mul_f32_e32 v57, 0x3ed4b147, v25
	v_add_f32_e32 v51, v51, v50
	v_mul_f32_e32 v50, 0x3f575c64, v36
	v_add_f32_e32 v34, v34, v52
	v_add_f32_e32 v3, v3, v1
	;; [unrolled: 1-line block ×3, first 2 shown]
	v_sub_f32_e32 v58, v50, v58
	v_add_f32_e32 v50, v49, v45
	v_mul_f32_e32 v45, 0xbe11bafb, v28
	v_add_f32_e32 v38, v38, v57
	v_add_f32_e32 v34, v34, v1
	;; [unrolled: 1-line block ×4, first 2 shown]
	v_mul_f32_e32 v52, 0xbf27a4f4, v37
	v_add_f32_e32 v34, v38, v34
	v_add_f32_e32 v40, v40, v45
	;; [unrolled: 1-line block ×4, first 2 shown]
	v_mul_f32_e32 v56, 0x3f575c64, v22
	v_mul_f32_e32 v38, 0xbf75a155, v41
	v_add_f32_e32 v34, v40, v34
	v_add_f32_e32 v40, v43, v52
	;; [unrolled: 1-line block ×4, first 2 shown]
	v_mul_f32_e32 v55, 0x3ed4b147, v24
	v_add_f32_e32 v34, v40, v34
	v_add_f32_e32 v38, v46, v38
	v_sub_f32_e32 v27, v56, v27
	v_add_f32_e32 v3, v15, v3
	v_add_f32_e32 v2, v4, v2
	v_fma_f32 v4, v23, s13, -v88
	v_mul_f32_e32 v60, 0xbe11bafb, v26
	v_add_f32_e32 v40, v38, v34
	v_add_f32_e32 v27, v27, v0
	v_sub_f32_e32 v34, v55, v35
	v_add_f32_e32 v3, v5, v3
	v_add_f32_e32 v1, v4, v1
	v_fma_f32 v4, v25, s12, -v89
	v_fmac_f32_e32 v92, 0xbf27a4f4, v22
	v_add_f32_e32 v49, v58, v51
	v_mul_f32_e32 v51, 0xbf27a4f4, v29
	v_add_f32_e32 v27, v34, v27
	v_sub_f32_e32 v34, v60, v39
	v_add_f32_e32 v3, v7, v3
	v_add_f32_e32 v2, v6, v2
	;; [unrolled: 1-line block ×3, first 2 shown]
	v_fma_f32 v4, v28, s6, -v90
	v_add_f32_e32 v0, v92, v0
	v_fmac_f32_e32 v93, 0xbe11bafb, v24
	v_mul_f32_e32 v57, 0xbf75a155, v36
	v_add_f32_e32 v27, v34, v27
	v_sub_f32_e32 v34, v51, v42
	v_add_f32_e32 v3, v17, v3
	v_add_f32_e32 v2, v16, v2
	;; [unrolled: 1-line block ×3, first 2 shown]
	v_fma_f32 v4, v37, s14, -v91
	v_add_f32_e32 v0, v93, v0
	v_fmac_f32_e32 v53, 0x3f575c64, v26
	v_add_f32_e32 v27, v34, v27
	v_sub_f32_e32 v34, v57, v44
	v_add_f32_e32 v3, v19, v3
	v_add_f32_e32 v2, v18, v2
	;; [unrolled: 1-line block ×3, first 2 shown]
	v_fma_f32 v4, v41, s7, -v94
	v_add_f32_e32 v0, v53, v0
	v_fmac_f32_e32 v59, 0xbf75a155, v29
	v_add_f32_e32 v39, v34, v27
	v_add_f32_e32 v3, v21, v3
	;; [unrolled: 1-line block ×5, first 2 shown]
	v_fmac_f32_e32 v69, 0x3ed4b147, v36
	v_lshlrev_b32_e32 v4, 3, v65
	v_add_f32_e32 v0, v69, v0
	ds_write2_b64 v4, v[2:3], v[39:40] offset1:1
	ds_write2_b64 v4, v[49:50], v[47:48] offset0:2 offset1:3
	ds_write2_b64 v4, v[76:77], v[74:75] offset0:4 offset1:5
	;; [unrolled: 1-line block ×4, first 2 shown]
	ds_write_b64 v4, v[32:33] offset:80
.LBB0_7:
	s_or_b64 exec, exec, s[4:5]
	s_load_dwordx4 s[4:7], s[0:1], 0x0
	s_movk_i32 s0, 0x75
	v_mul_lo_u16_sdwa v0, v64, s0 dst_sel:DWORD dst_unused:UNUSED_PAD src0_sel:BYTE_0 src1_sel:DWORD
	v_sub_u16_sdwa v1, v64, v0 dst_sel:DWORD dst_unused:UNUSED_PAD src0_sel:DWORD src1_sel:BYTE_1
	v_lshrrev_b16_e32 v1, 1, v1
	v_and_b32_e32 v1, 0x7f, v1
	v_add_u16_sdwa v0, v1, v0 dst_sel:DWORD dst_unused:UNUSED_PAD src0_sel:DWORD src1_sel:BYTE_1
	v_lshrrev_b16_e32 v38, 3, v0
	v_mul_lo_u16_e32 v0, 11, v38
	v_sub_u16_e32 v0, v64, v0
	v_and_b32_e32 v39, 0xff, v0
	v_lshlrev_b32_e32 v16, 6, v39
	s_waitcnt lgkmcnt(0)
	; wave barrier
	s_waitcnt lgkmcnt(0)
	global_load_dwordx4 v[12:15], v16, s[2:3]
	global_load_dwordx4 v[8:11], v16, s[2:3] offset:16
	global_load_dwordx4 v[4:7], v16, s[2:3] offset:32
	;; [unrolled: 1-line block ×3, first 2 shown]
	ds_read2_b64 v[16:19], v63 offset1:44
	ds_read2_b64 v[20:23], v63 offset0:88 offset1:132
	ds_read2_b64 v[24:27], v63 offset0:176 offset1:220
	v_add_u32_e32 v67, 0x800, v63
	ds_read_b64 v[28:29], v63 offset:2816
	ds_read2_b64 v[34:37], v67 offset0:8 offset1:52
	s_waitcnt lgkmcnt(4)
	v_mov_b32_e32 v40, v16
	v_mov_b32_e32 v41, v17
	s_mov_b32 s0, 0xbf248dbb
	v_mul_u32_u24_e32 v38, 0x63, v38
	v_add_lshl_u32 v66, v38, v39, 3
	s_waitcnt lgkmcnt(0)
	; wave barrier
	s_waitcnt vmcnt(3) lgkmcnt(0)
	v_mul_f32_e32 v42, v19, v13
	v_mul_f32_e32 v43, v18, v13
	s_waitcnt vmcnt(2)
	v_mul_f32_e32 v47, v22, v9
	s_waitcnt vmcnt(0)
	v_mul_f32_e32 v57, v29, v3
	v_mul_f32_e32 v58, v28, v3
	;; [unrolled: 1-line block ×13, first 2 shown]
	v_fma_f32 v18, v18, v12, -v42
	v_fmac_f32_e32 v43, v19, v12
	v_fmac_f32_e32 v47, v23, v8
	v_fma_f32 v23, v28, v2, -v57
	v_fmac_f32_e32 v58, v29, v2
	v_fma_f32 v19, v20, v14, -v44
	;; [unrolled: 2-line block ×3, first 2 shown]
	v_fma_f32 v42, v24, v10, -v48
	v_fmac_f32_e32 v49, v25, v10
	v_fma_f32 v44, v26, v4, -v50
	v_fmac_f32_e32 v51, v27, v4
	;; [unrolled: 2-line block ×4, first 2 shown]
	v_add_f32_e32 v36, v18, v23
	v_add_f32_e32 v37, v43, v58
	v_sub_f32_e32 v34, v18, v23
	v_sub_f32_e32 v35, v43, v58
	v_add_f32_e32 v46, v19, v22
	v_add_f32_e32 v48, v45, v56
	;; [unrolled: 1-line block ×4, first 2 shown]
	v_sub_f32_e32 v43, v19, v22
	v_sub_f32_e32 v45, v45, v56
	;; [unrolled: 1-line block ×6, first 2 shown]
	v_mul_f32_e32 v20, 0x3f248dbb, v34
	v_mul_f32_e32 v21, 0x3f248dbb, v35
	v_fmac_f32_e32 v40, 0x3f441b7d, v36
	v_fmac_f32_e32 v41, 0x3f441b7d, v37
	v_add_f32_e32 v57, v42, v44
	v_add_f32_e32 v58, v49, v51
	v_fmac_f32_e32 v20, 0x3f7c1c5c, v43
	v_fmac_f32_e32 v21, 0x3f7c1c5c, v45
	;; [unrolled: 1-line block ×4, first 2 shown]
	v_add_f32_e32 v24, v53, v34
	v_add_f32_e32 v25, v56, v35
	;; [unrolled: 1-line block ×4, first 2 shown]
	v_fmac_f32_e32 v20, 0x3f5db3d7, v55
	v_fmac_f32_e32 v21, 0x3f5db3d7, v47
	v_fmac_f32_e32 v40, -0.5, v50
	v_fmac_f32_e32 v41, -0.5, v52
	v_sub_f32_e32 v26, v24, v43
	v_sub_f32_e32 v27, v25, v45
	v_add_f32_e32 v24, v50, v16
	v_add_f32_e32 v25, v52, v17
	;; [unrolled: 1-line block ×4, first 2 shown]
	v_fmac_f32_e32 v20, 0x3eaf1d44, v53
	v_fmac_f32_e32 v21, 0x3eaf1d44, v56
	v_fmac_f32_e32 v40, 0xbf708fb2, v57
	v_fmac_f32_e32 v41, 0xbf708fb2, v58
	v_fmac_f32_e32 v24, -0.5, v61
	v_fmac_f32_e32 v25, -0.5, v62
	v_add_f32_e32 v18, v21, v40
	v_sub_f32_e32 v19, v41, v20
	v_mul_f32_e32 v40, 0x3f5db3d7, v26
	v_mul_f32_e32 v41, 0x3f5db3d7, v27
	v_fmac_f32_e32 v24, 0x3f5db3d7, v27
	v_fmac_f32_e32 v25, 0xbf5db3d7, v26
	v_fma_f32 v26, -2.0, v41, v24
	v_fma_f32 v27, 2.0, v40, v25
	v_mul_f32_e32 v40, 0x3f7c1c5c, v53
	v_mul_f32_e32 v41, 0x3f7c1c5c, v56
	v_fma_f32 v40, v43, s0, -v40
	v_fma_f32 v41, v45, s0, -v41
	v_mul_f32_e32 v23, 0xbf248dbb, v53
	v_mul_f32_e32 v22, 0xbf248dbb, v56
	v_fmac_f32_e32 v40, 0x3f5db3d7, v55
	v_fmac_f32_e32 v41, 0x3f5db3d7, v47
	;; [unrolled: 1-line block ×6, first 2 shown]
	v_add_f32_e32 v34, v50, v59
	v_add_f32_e32 v35, v52, v60
	;; [unrolled: 1-line block ×6, first 2 shown]
	v_fma_f32 v28, -2.0, v21, v18
	v_fma_f32 v29, 2.0, v20, v19
	v_mov_b32_e32 v20, v16
	v_mov_b32_e32 v21, v17
	v_add_f32_e32 v34, v34, v16
	v_add_f32_e32 v35, v35, v17
	v_fmac_f32_e32 v16, 0x3f441b7d, v46
	v_fmac_f32_e32 v17, 0x3f441b7d, v48
	v_fmac_f32_e32 v20, 0x3f441b7d, v57
	v_fmac_f32_e32 v21, 0x3f441b7d, v58
	v_fmac_f32_e32 v16, 0x3e31d0d4, v57
	v_fmac_f32_e32 v17, 0x3e31d0d4, v58
	v_fmac_f32_e32 v20, 0x3e31d0d4, v36
	v_fmac_f32_e32 v21, 0x3e31d0d4, v37
	v_fmac_f32_e32 v16, -0.5, v50
	v_fmac_f32_e32 v17, -0.5, v52
	v_fmac_f32_e32 v23, 0xbf5db3d7, v55
	v_fmac_f32_e32 v22, 0xbf5db3d7, v47
	v_fmac_f32_e32 v20, -0.5, v50
	v_fmac_f32_e32 v21, -0.5, v52
	v_fmac_f32_e32 v16, 0xbf708fb2, v36
	v_fmac_f32_e32 v17, 0xbf708fb2, v37
	;; [unrolled: 1-line block ×6, first 2 shown]
	v_add_f32_e32 v16, v41, v16
	v_sub_f32_e32 v17, v17, v40
	v_add_f32_e32 v20, v22, v20
	v_sub_f32_e32 v21, v21, v23
	v_fma_f32 v36, -2.0, v41, v16
	v_fma_f32 v37, 2.0, v40, v17
	v_fma_f32 v22, -2.0, v22, v20
	v_fma_f32 v23, 2.0, v23, v21
	ds_write2_b64 v66, v[34:35], v[18:19] offset1:11
	ds_write2_b64 v66, v[20:21], v[24:25] offset0:22 offset1:33
	ds_write2_b64 v66, v[16:17], v[36:37] offset0:44 offset1:55
	;; [unrolled: 1-line block ×3, first 2 shown]
	ds_write_b64 v66, v[28:29] offset:704
	s_waitcnt lgkmcnt(0)
	; wave barrier
	s_waitcnt lgkmcnt(0)
	ds_read2_b64 v[36:39], v63 offset1:44
	ds_read2_b64 v[40:43], v63 offset0:99 offset1:143
	ds_read2_b64 v[44:47], v63 offset0:198 offset1:242
	ds_read2_b64 v[48:51], v67 offset0:41 offset1:85
	v_cmp_gt_u16_e64 s[0:1], 11, v64
	s_and_saveexec_b64 s[12:13], s[0:1]
	s_cbranch_execz .LBB0_9
; %bb.8:
	ds_read2_b64 v[28:31], v63 offset0:88 offset1:187
	ds_read2_b64 v[32:35], v67 offset0:30 offset1:129
.LBB0_9:
	s_or_b64 exec, exec, s[12:13]
	v_mad_u64_u32 v[16:17], s[12:13], v64, 24, s[2:3]
	v_add_u32_e32 v18, 0x58, v64
	v_add_u32_e32 v19, -11, v64
	v_cndmask_b32_e64 v18, v19, v18, s[0:1]
	global_load_dwordx2 v[57:58], v[16:17], off offset:720
	global_load_dwordx4 v[20:23], v[16:17], off offset:704
	global_load_dwordx2 v[59:60], v[16:17], off offset:1776
	global_load_dwordx4 v[24:27], v[16:17], off offset:1760
	v_mul_i32_i24_e32 v16, 24, v18
	v_mov_b32_e32 v53, s3
	v_mul_hi_i32_i24_e32 v19, 24, v18
	v_add_co_u32_e64 v52, s[2:3], s2, v16
	v_addc_co_u32_e64 v53, s[2:3], v53, v19, s[2:3]
	global_load_dwordx4 v[16:19], v[52:53], off offset:704
	global_load_dwordx2 v[55:56], v[52:53], off offset:720
	s_waitcnt vmcnt(5) lgkmcnt(0)
	v_mul_f32_e32 v68, v49, v58
	s_waitcnt vmcnt(4)
	v_mul_f32_e32 v52, v41, v21
	v_mul_f32_e32 v53, v40, v21
	;; [unrolled: 1-line block ×5, first 2 shown]
	s_waitcnt vmcnt(2)
	v_mul_f32_e32 v71, v42, v25
	v_mul_f32_e32 v72, v47, v27
	;; [unrolled: 1-line block ×4, first 2 shown]
	s_waitcnt vmcnt(1)
	v_mul_f32_e32 v77, v30, v17
	v_mul_f32_e32 v78, v33, v19
	;; [unrolled: 1-line block ×3, first 2 shown]
	s_waitcnt vmcnt(0)
	v_mul_f32_e32 v80, v35, v56
	v_mul_f32_e32 v81, v34, v56
	v_fma_f32 v40, v40, v20, -v52
	v_fmac_f32_e32 v53, v41, v20
	v_fma_f32 v41, v44, v22, -v61
	v_fmac_f32_e32 v62, v45, v22
	;; [unrolled: 2-line block ×3, first 2 shown]
	v_mul_f32_e32 v70, v43, v25
	v_mul_f32_e32 v75, v50, v60
	v_mul_f32_e32 v76, v31, v17
	v_fmac_f32_e32 v71, v43, v24
	v_fma_f32 v43, v46, v26, -v72
	v_fmac_f32_e32 v73, v47, v26
	v_fma_f32 v45, v50, v59, -v74
	;; [unrolled: 2-line block ×4, first 2 shown]
	v_fmac_f32_e32 v81, v35, v55
	v_sub_f32_e32 v32, v36, v41
	v_sub_f32_e32 v33, v37, v62
	;; [unrolled: 1-line block ×7, first 2 shown]
	v_fma_f32 v31, v36, 2.0, -v32
	v_fma_f32 v36, v37, 2.0, -v33
	;; [unrolled: 1-line block ×4, first 2 shown]
	v_fma_f32 v42, v42, v24, -v70
	v_fmac_f32_e32 v75, v51, v59
	v_fma_f32 v30, v30, v16, -v76
	v_sub_f32_e32 v40, v32, v35
	v_add_f32_e32 v41, v33, v34
	v_fma_f32 v51, v38, 2.0, -v46
	v_fma_f32 v53, v39, 2.0, -v47
	v_sub_f32_e32 v38, v31, v37
	v_sub_f32_e32 v39, v36, v48
	;; [unrolled: 1-line block ×5, first 2 shown]
	v_fma_f32 v34, v32, 2.0, -v40
	v_fma_f32 v35, v33, 2.0, -v41
	;; [unrolled: 1-line block ×4, first 2 shown]
	v_sub_f32_e32 v31, v30, v50
	v_sub_f32_e32 v36, v77, v81
	v_fma_f32 v42, v42, 2.0, -v43
	v_fma_f32 v49, v71, 2.0, -v44
	;; [unrolled: 1-line block ×6, first 2 shown]
	v_sub_f32_e32 v44, v46, v44
	v_add_f32_e32 v45, v47, v43
	v_sub_f32_e32 v42, v51, v42
	v_sub_f32_e32 v43, v53, v49
	;; [unrolled: 1-line block ×5, first 2 shown]
	v_add_f32_e32 v31, v68, v31
	v_fma_f32 v48, v46, 2.0, -v44
	v_fma_f32 v49, v47, 2.0, -v45
	v_fma_f32 v46, v51, 2.0, -v42
	v_fma_f32 v47, v53, 2.0, -v43
	v_fma_f32 v50, v28, 2.0, -v61
	v_fma_f32 v51, v29, 2.0, -v62
	v_fma_f32 v52, v52, 2.0, -v30
	v_fma_f32 v53, v68, 2.0, -v31
	ds_write2_b64 v63, v[32:33], v[46:47] offset1:44
	ds_write2_b64 v63, v[34:35], v[48:49] offset0:99 offset1:143
	ds_write2_b64 v63, v[38:39], v[42:43] offset0:198 offset1:242
	;; [unrolled: 1-line block ×3, first 2 shown]
	s_and_saveexec_b64 s[2:3], s[0:1]
	s_cbranch_execz .LBB0_11
; %bb.10:
	v_add_u32_e32 v28, 0x800, v63
	ds_write2_b64 v63, v[50:51], v[52:53] offset0:88 offset1:187
	ds_write2_b64 v28, v[61:62], v[30:31] offset0:30 offset1:129
.LBB0_11:
	s_or_b64 exec, exec, s[2:3]
	s_waitcnt lgkmcnt(0)
	; wave barrier
	s_waitcnt lgkmcnt(0)
	s_and_saveexec_b64 s[2:3], vcc
	s_cbranch_execz .LBB0_13
; %bb.12:
	global_load_dwordx2 v[28:29], v63, s[8:9] offset:3168
	s_add_u32 s12, s8, 0xc60
	s_addc_u32 s13, s9, 0
	global_load_dwordx2 v[36:37], v63, s[12:13] offset:288
	global_load_dwordx2 v[87:88], v63, s[12:13] offset:576
	;; [unrolled: 1-line block ×10, first 2 shown]
	ds_read_b64 v[67:68], v63
	v_add_u32_e32 v105, 0x400, v63
	v_add_u32_e32 v106, 0x800, v63
	s_waitcnt vmcnt(10) lgkmcnt(0)
	v_mul_f32_e32 v69, v68, v29
	v_mul_f32_e32 v70, v67, v29
	v_fma_f32 v69, v67, v28, -v69
	v_fmac_f32_e32 v70, v68, v28
	ds_write_b64 v63, v[69:70]
	ds_read2_b64 v[67:70], v63 offset0:36 offset1:72
	ds_read2_b64 v[71:74], v63 offset0:108 offset1:144
	;; [unrolled: 1-line block ×5, first 2 shown]
	s_waitcnt vmcnt(9) lgkmcnt(4)
	v_mul_f32_e32 v28, v68, v37
	v_mul_f32_e32 v29, v67, v37
	s_waitcnt vmcnt(8)
	v_mul_f32_e32 v107, v70, v88
	v_mul_f32_e32 v37, v69, v88
	s_waitcnt vmcnt(7) lgkmcnt(3)
	v_mul_f32_e32 v108, v72, v90
	v_mul_f32_e32 v88, v71, v90
	s_waitcnt vmcnt(6)
	v_mul_f32_e32 v109, v74, v92
	v_mul_f32_e32 v90, v73, v92
	;; [unrolled: 6-line block ×5, first 2 shown]
	v_fma_f32 v28, v67, v36, -v28
	v_fmac_f32_e32 v29, v68, v36
	v_fma_f32 v36, v69, v87, -v107
	v_fmac_f32_e32 v37, v70, v87
	v_fma_f32 v87, v71, v89, -v108
	v_fmac_f32_e32 v88, v72, v89
	v_fma_f32 v89, v73, v91, -v109
	v_fmac_f32_e32 v90, v74, v91
	v_fma_f32 v91, v75, v93, -v110
	v_fmac_f32_e32 v92, v76, v93
	v_fma_f32 v93, v77, v95, -v111
	v_fmac_f32_e32 v94, v78, v95
	v_fma_f32 v95, v79, v97, -v112
	v_fmac_f32_e32 v96, v80, v97
	v_fma_f32 v97, v81, v99, -v113
	v_fmac_f32_e32 v98, v82, v99
	v_fma_f32 v99, v83, v101, -v114
	v_fmac_f32_e32 v100, v84, v101
	v_fma_f32 v101, v85, v103, -v115
	v_fmac_f32_e32 v102, v86, v103
	ds_write2_b64 v63, v[28:29], v[36:37] offset0:36 offset1:72
	ds_write2_b64 v63, v[87:88], v[89:90] offset0:108 offset1:144
	;; [unrolled: 1-line block ×5, first 2 shown]
.LBB0_13:
	s_or_b64 exec, exec, s[2:3]
	s_waitcnt lgkmcnt(0)
	; wave barrier
	s_waitcnt lgkmcnt(0)
	s_and_saveexec_b64 s[2:3], vcc
	s_cbranch_execz .LBB0_15
; %bb.14:
	ds_read2_b64 v[32:35], v63 offset1:36
	ds_read2_b64 v[38:41], v63 offset0:72 offset1:108
	ds_read2_b64 v[46:49], v63 offset0:144 offset1:180
	ds_read2_b64 v[42:45], v63 offset0:216 offset1:252
	v_add_u32_e32 v28, 0x800, v63
	ds_read2_b64 v[50:53], v28 offset0:32 offset1:68
	ds_read_b64 v[61:62], v63 offset:2880
.LBB0_15:
	s_or_b64 exec, exec, s[2:3]
	s_waitcnt lgkmcnt(0)
	v_sub_f32_e32 v93, v35, v62
	v_add_f32_e32 v67, v61, v34
	v_add_f32_e32 v86, v62, v35
	s_mov_b32 s12, 0x3f575c64
	v_mul_f32_e32 v73, 0xbf0a6770, v93
	v_sub_f32_e32 v98, v39, v53
	v_mul_f32_e32 v75, 0x3f575c64, v86
	v_fma_f32 v28, v67, s12, -v73
	s_mov_b32 s13, 0x3ed4b147
	v_add_f32_e32 v69, v52, v38
	v_add_f32_e32 v92, v53, v39
	v_mul_f32_e32 v77, 0xbf68dda4, v98
	v_sub_f32_e32 v68, v34, v61
	v_add_f32_e32 v28, v32, v28
	v_mov_b32_e32 v29, v75
	v_mul_f32_e32 v80, 0x3ed4b147, v92
	v_fma_f32 v71, v69, s13, -v77
	v_fmac_f32_e32 v29, 0xbf0a6770, v68
	v_mul_f32_e32 v79, 0xbf68dda4, v93
	v_sub_f32_e32 v70, v38, v52
	v_add_f32_e32 v28, v71, v28
	v_mov_b32_e32 v71, v80
	v_add_f32_e32 v29, v33, v29
	v_mul_f32_e32 v83, 0x3ed4b147, v86
	v_fma_f32 v36, v67, s13, -v79
	v_fmac_f32_e32 v71, 0xbf68dda4, v70
	s_mov_b32 s14, 0xbf27a4f4
	v_mul_f32_e32 v84, 0xbf4178ce, v98
	v_add_f32_e32 v36, v32, v36
	v_mov_b32_e32 v37, v83
	v_add_f32_e32 v29, v71, v29
	v_mul_f32_e32 v88, 0xbf27a4f4, v92
	v_fma_f32 v71, v69, s14, -v84
	v_fmac_f32_e32 v37, 0xbf68dda4, v68
	v_add_f32_e32 v36, v71, v36
	v_mov_b32_e32 v71, v88
	v_add_f32_e32 v37, v33, v37
	v_fmac_f32_e32 v71, 0xbf4178ce, v70
	v_sub_f32_e32 v101, v41, v51
	v_add_f32_e32 v37, v71, v37
	v_add_f32_e32 v71, v50, v40
	;; [unrolled: 1-line block ×3, first 2 shown]
	s_mov_b32 s15, 0xbe11bafb
	v_mul_f32_e32 v82, 0xbf7d64f0, v101
	v_mul_f32_e32 v85, 0xbe11bafb, v97
	v_fma_f32 v74, v71, s15, -v82
	v_sub_f32_e32 v72, v40, v50
	v_add_f32_e32 v28, v74, v28
	v_mov_b32_e32 v74, v85
	v_fmac_f32_e32 v74, 0xbf7d64f0, v72
	s_mov_b32 s16, 0xbf75a155
	v_mul_f32_e32 v89, 0x3e903f40, v101
	v_add_f32_e32 v29, v74, v29
	v_mul_f32_e32 v94, 0xbf75a155, v97
	v_fma_f32 v74, v71, s16, -v89
	v_add_f32_e32 v36, v74, v36
	v_mov_b32_e32 v74, v94
	v_fmac_f32_e32 v74, 0x3e903f40, v72
	v_sub_f32_e32 v104, v47, v45
	v_add_f32_e32 v37, v74, v37
	v_add_f32_e32 v74, v44, v46
	;; [unrolled: 1-line block ×3, first 2 shown]
	v_mul_f32_e32 v87, 0xbf4178ce, v104
	v_mul_f32_e32 v90, 0xbf27a4f4, v102
	v_fma_f32 v78, v74, s14, -v87
	v_sub_f32_e32 v76, v46, v44
	v_add_f32_e32 v28, v78, v28
	v_mov_b32_e32 v78, v90
	v_fmac_f32_e32 v78, 0xbf4178ce, v76
	v_mul_f32_e32 v95, 0x3f7d64f0, v104
	v_add_f32_e32 v29, v78, v29
	v_mul_f32_e32 v99, 0xbe11bafb, v102
	v_fma_f32 v78, v74, s15, -v95
	v_add_f32_e32 v36, v78, v36
	v_mov_b32_e32 v78, v99
	v_fmac_f32_e32 v78, 0x3f7d64f0, v76
	v_sub_f32_e32 v106, v49, v43
	v_add_f32_e32 v37, v78, v37
	v_add_f32_e32 v78, v42, v48
	v_add_f32_e32 v105, v43, v49
	v_mul_f32_e32 v91, 0xbe903f40, v106
	v_mul_f32_e32 v96, 0xbf75a155, v105
	v_fma_f32 v100, v78, s16, -v91
	v_sub_f32_e32 v81, v48, v42
	v_add_f32_e32 v28, v100, v28
	v_mov_b32_e32 v100, v96
	v_fmac_f32_e32 v100, 0xbe903f40, v81
	v_add_f32_e32 v29, v100, v29
	v_mul_f32_e32 v100, 0x3f0a6770, v106
	v_mul_f32_e32 v103, 0x3f575c64, v105
	v_fma_f32 v107, v78, s12, -v100
	v_add_f32_e32 v36, v107, v36
	v_mov_b32_e32 v107, v103
	v_fmac_f32_e32 v107, 0x3f0a6770, v81
	v_add_f32_e32 v37, v107, v37
	s_waitcnt lgkmcnt(0)
	; wave barrier
	s_and_saveexec_b64 s[2:3], vcc
	s_cbranch_execz .LBB0_17
; %bb.16:
	v_mul_f32_e32 v135, 0xbf7d64f0, v68
	v_mov_b32_e32 v107, v135
	v_mul_f32_e32 v136, 0x3e903f40, v70
	v_fmac_f32_e32 v107, 0xbe11bafb, v86
	v_mov_b32_e32 v108, v136
	v_add_f32_e32 v107, v33, v107
	v_fmac_f32_e32 v108, 0xbf75a155, v92
	v_mul_f32_e32 v137, 0x3f68dda4, v72
	v_add_f32_e32 v107, v108, v107
	v_mov_b32_e32 v108, v137
	v_fmac_f32_e32 v108, 0x3ed4b147, v97
	v_mul_f32_e32 v138, 0xbf0a6770, v76
	v_add_f32_e32 v107, v108, v107
	v_mov_b32_e32 v108, v138
	;; [unrolled: 4-line block ×3, first 2 shown]
	v_fmac_f32_e32 v108, 0xbf27a4f4, v105
	v_mul_f32_e32 v140, 0xbf7d64f0, v93
	v_add_f32_e32 v108, v108, v107
	v_fma_f32 v107, v67, s15, -v140
	v_mul_f32_e32 v141, 0x3e903f40, v98
	v_add_f32_e32 v107, v32, v107
	v_fma_f32 v109, v69, s16, -v141
	;; [unrolled: 3-line block ×5, first 2 shown]
	v_mul_f32_e32 v111, 0xbe903f40, v68
	v_add_f32_e32 v107, v109, v107
	v_mov_b32_e32 v109, v111
	v_mul_f32_e32 v112, 0x3f0a6770, v70
	v_fmac_f32_e32 v109, 0xbf75a155, v86
	v_mov_b32_e32 v110, v112
	v_add_f32_e32 v109, v33, v109
	v_fmac_f32_e32 v110, 0x3f575c64, v92
	v_mul_f32_e32 v113, 0xbf4178ce, v72
	v_add_f32_e32 v109, v110, v109
	v_mov_b32_e32 v110, v113
	v_fmac_f32_e32 v110, 0xbf27a4f4, v97
	v_mul_f32_e32 v114, 0x3f68dda4, v76
	v_add_f32_e32 v109, v110, v109
	v_mov_b32_e32 v110, v114
	;; [unrolled: 4-line block ×3, first 2 shown]
	v_fmac_f32_e32 v110, 0xbe11bafb, v105
	v_mul_f32_e32 v146, 0xbe903f40, v93
	v_fma_f32 v111, v86, s16, -v111
	v_add_f32_e32 v110, v110, v109
	v_fma_f32 v109, v67, s16, -v146
	v_mul_f32_e32 v147, 0x3f0a6770, v98
	v_add_f32_e32 v111, v33, v111
	v_fma_f32 v112, v92, s12, -v112
	v_add_f32_e32 v109, v32, v109
	v_fma_f32 v148, v69, s12, -v147
	;; [unrolled: 2-line block ×3, first 2 shown]
	v_add_f32_e32 v109, v148, v109
	v_mul_f32_e32 v148, 0xbf4178ce, v101
	v_add_f32_e32 v111, v112, v111
	v_fma_f32 v112, v102, s13, -v114
	v_fma_f32 v149, v71, s14, -v148
	v_add_f32_e32 v111, v112, v111
	v_fma_f32 v112, v105, s15, -v145
	v_fmac_f32_e32 v146, 0xbf75a155, v67
	v_add_f32_e32 v109, v149, v109
	v_mul_f32_e32 v149, 0x3f68dda4, v104
	v_add_f32_e32 v112, v112, v111
	v_add_f32_e32 v111, v32, v146
	v_fmac_f32_e32 v147, 0x3f575c64, v69
	v_fma_f32 v150, v74, s13, -v149
	v_add_f32_e32 v111, v147, v111
	v_fmac_f32_e32 v148, 0xbf27a4f4, v71
	v_add_f32_e32 v109, v150, v109
	v_mul_f32_e32 v150, 0xbf7d64f0, v106
	v_add_f32_e32 v111, v148, v111
	v_fmac_f32_e32 v149, 0x3ed4b147, v74
	v_fma_f32 v151, v78, s15, -v150
	v_add_f32_e32 v111, v149, v111
	v_fmac_f32_e32 v150, 0xbe11bafb, v78
	v_add_f32_e32 v111, v150, v111
	v_mul_f32_e32 v145, 0xbf27a4f4, v86
	v_mul_f32_e32 v150, 0xbf4178ce, v93
	v_add_f32_e32 v109, v151, v109
	v_mov_b32_e32 v113, v145
	v_mul_f32_e32 v146, 0xbe11bafb, v92
	v_mov_b32_e32 v93, v150
	v_mul_f32_e32 v151, 0x3f7d64f0, v98
	v_fmac_f32_e32 v113, 0x3f4178ce, v68
	v_mov_b32_e32 v114, v146
	v_fmac_f32_e32 v93, 0xbf27a4f4, v67
	v_mov_b32_e32 v98, v151
	v_add_f32_e32 v113, v33, v113
	v_fmac_f32_e32 v114, 0xbf7d64f0, v70
	v_mul_f32_e32 v147, 0x3f575c64, v97
	v_add_f32_e32 v93, v32, v93
	v_fmac_f32_e32 v98, 0xbe11bafb, v69
	v_mul_f32_e32 v101, 0xbf0a6770, v101
	v_add_f32_e32 v113, v114, v113
	v_mov_b32_e32 v114, v147
	v_add_f32_e32 v93, v98, v93
	v_mov_b32_e32 v98, v101
	v_fmac_f32_e32 v114, 0x3f0a6770, v72
	v_mul_f32_e32 v148, 0xbf75a155, v102
	v_fmac_f32_e32 v98, 0x3f575c64, v71
	v_mul_f32_e32 v104, 0xbe903f40, v104
	v_fma_f32 v86, v86, s15, -v135
	v_add_f32_e32 v113, v114, v113
	v_mov_b32_e32 v114, v148
	v_add_f32_e32 v93, v98, v93
	v_mov_b32_e32 v98, v104
	v_add_f32_e32 v86, v33, v86
	v_fma_f32 v92, v92, s16, -v136
	v_fmac_f32_e32 v114, 0x3e903f40, v76
	v_mul_f32_e32 v149, 0x3ed4b147, v105
	v_fmac_f32_e32 v98, 0xbf75a155, v74
	v_mul_f32_e32 v106, 0x3f68dda4, v106
	v_add_f32_e32 v86, v92, v86
	v_fma_f32 v92, v97, s13, -v137
	v_add_f32_e32 v113, v114, v113
	v_mov_b32_e32 v114, v149
	v_add_f32_e32 v93, v98, v93
	v_mov_b32_e32 v98, v106
	v_add_f32_e32 v86, v92, v86
	v_fma_f32 v92, v102, s12, -v138
	v_fmac_f32_e32 v114, 0xbf68dda4, v81
	v_fmac_f32_e32 v98, 0x3ed4b147, v78
	v_add_f32_e32 v86, v92, v86
	v_fma_f32 v92, v105, s14, -v139
	v_fmac_f32_e32 v140, 0xbe11bafb, v67
	v_add_f32_e32 v114, v114, v113
	v_add_f32_e32 v113, v98, v93
	v_add_f32_e32 v93, v92, v86
	v_add_f32_e32 v86, v32, v140
	v_fmac_f32_e32 v141, 0xbf75a155, v69
	v_add_f32_e32 v86, v141, v86
	v_fmac_f32_e32 v142, 0x3ed4b147, v71
	v_mul_f32_e32 v118, 0xbf68dda4, v68
	v_add_f32_e32 v86, v142, v86
	v_fmac_f32_e32 v143, 0x3f575c64, v74
	v_mul_f32_e32 v122, 0xbf4178ce, v70
	v_add_f32_e32 v86, v143, v86
	v_fmac_f32_e32 v144, 0xbf27a4f4, v78
	v_sub_f32_e32 v83, v83, v118
	v_mul_f32_e32 v126, 0x3e903f40, v72
	v_add_f32_e32 v92, v144, v86
	v_add_f32_e32 v83, v33, v83
	v_sub_f32_e32 v86, v88, v122
	v_mul_f32_e32 v130, 0x3f7d64f0, v76
	v_add_f32_e32 v83, v86, v83
	v_sub_f32_e32 v86, v94, v126
	v_mul_f32_e32 v117, 0x3ed4b147, v67
	v_mul_f32_e32 v134, 0x3f0a6770, v81
	v_add_f32_e32 v83, v86, v83
	v_sub_f32_e32 v86, v99, v130
	v_mul_f32_e32 v121, 0xbf27a4f4, v69
	v_add_f32_e32 v83, v86, v83
	v_sub_f32_e32 v86, v103, v134
	v_add_f32_e32 v79, v117, v79
	v_mul_f32_e32 v125, 0xbf75a155, v71
	v_add_f32_e32 v98, v86, v83
	v_add_f32_e32 v79, v32, v79
	v_add_f32_e32 v83, v121, v84
	v_mul_f32_e32 v129, 0xbe11bafb, v74
	v_add_f32_e32 v79, v83, v79
	v_add_f32_e32 v83, v125, v89
	v_mul_f32_e32 v116, 0xbf0a6770, v68
	v_mul_f32_e32 v133, 0x3f575c64, v78
	v_add_f32_e32 v79, v83, v79
	v_add_f32_e32 v83, v129, v95
	v_mul_f32_e32 v120, 0xbf68dda4, v70
	v_add_f32_e32 v79, v83, v79
	v_add_f32_e32 v83, v133, v100
	v_sub_f32_e32 v75, v75, v116
	v_add_f32_e32 v35, v35, v33
	v_add_f32_e32 v34, v34, v32
	v_mul_f32_e32 v124, 0xbf7d64f0, v72
	v_add_f32_e32 v97, v83, v79
	v_add_f32_e32 v75, v33, v75
	v_sub_f32_e32 v79, v80, v120
	v_add_f32_e32 v35, v39, v35
	v_add_f32_e32 v34, v38, v34
	v_mul_f32_e32 v128, 0xbf4178ce, v76
	v_add_f32_e32 v75, v79, v75
	v_sub_f32_e32 v79, v85, v124
	v_add_f32_e32 v35, v41, v35
	v_add_f32_e32 v34, v40, v34
	v_mul_f32_e32 v115, 0x3f575c64, v67
	v_mul_f32_e32 v132, 0xbe903f40, v81
	v_add_f32_e32 v75, v79, v75
	v_sub_f32_e32 v79, v90, v128
	v_add_f32_e32 v35, v47, v35
	v_add_f32_e32 v34, v46, v34
	v_mul_f32_e32 v119, 0x3ed4b147, v69
	v_add_f32_e32 v75, v79, v75
	v_sub_f32_e32 v79, v96, v132
	v_add_f32_e32 v73, v115, v73
	v_add_f32_e32 v35, v49, v35
	v_add_f32_e32 v34, v48, v34
	v_fma_f32 v38, v67, s14, -v150
	v_mul_f32_e32 v123, 0xbe11bafb, v71
	v_add_f32_e32 v80, v79, v75
	v_add_f32_e32 v73, v32, v73
	v_add_f32_e32 v75, v119, v77
	v_add_f32_e32 v35, v43, v35
	v_add_f32_e32 v34, v42, v34
	v_fmac_f32_e32 v145, 0xbf4178ce, v68
	v_add_f32_e32 v32, v32, v38
	v_fma_f32 v38, v69, s15, -v151
	v_mul_f32_e32 v127, 0xbf27a4f4, v74
	v_add_f32_e32 v73, v75, v73
	v_add_f32_e32 v75, v123, v82
	v_add_f32_e32 v35, v45, v35
	v_add_f32_e32 v34, v44, v34
	v_add_f32_e32 v33, v33, v145
	v_fmac_f32_e32 v146, 0x3f7d64f0, v70
	v_add_f32_e32 v32, v38, v32
	;; [unrolled: 9-line block ×3, first 2 shown]
	v_fma_f32 v38, v74, s16, -v104
	v_add_f32_e32 v73, v75, v73
	v_add_f32_e32 v75, v131, v91
	;; [unrolled: 1-line block ×5, first 2 shown]
	v_fmac_f32_e32 v148, 0xbe903f40, v76
	v_add_f32_e32 v32, v38, v32
	v_fma_f32 v38, v78, s13, -v106
	v_add_f32_e32 v79, v75, v73
	v_add_f32_e32 v35, v62, v35
	;; [unrolled: 1-line block ×4, first 2 shown]
	v_fmac_f32_e32 v149, 0x3f68dda4, v81
	v_add_f32_e32 v32, v38, v32
	v_lshlrev_b32_e32 v38, 3, v65
	v_add_f32_e32 v33, v149, v33
	ds_write2_b64 v38, v[34:35], v[79:80] offset1:1
	ds_write2_b64 v38, v[97:98], v[92:93] offset0:2 offset1:3
	ds_write2_b64 v38, v[113:114], v[111:112] offset0:4 offset1:5
	;; [unrolled: 1-line block ×4, first 2 shown]
	ds_write_b64 v38, v[28:29] offset:80
.LBB0_17:
	s_or_b64 exec, exec, s[2:3]
	s_waitcnt lgkmcnt(0)
	; wave barrier
	s_waitcnt lgkmcnt(0)
	ds_read2_b64 v[38:41], v63 offset1:44
	ds_read2_b64 v[42:45], v63 offset0:88 offset1:132
	ds_read2_b64 v[46:49], v63 offset0:176 offset1:220
	v_add_u32_e32 v32, 0x800, v63
	ds_read2_b64 v[50:53], v32 offset0:8 offset1:52
	ds_read_b64 v[33:34], v63 offset:2816
	s_waitcnt lgkmcnt(4)
	v_mul_f32_e32 v35, v13, v41
	v_mul_f32_e32 v13, v13, v40
	v_fmac_f32_e32 v35, v12, v40
	v_fma_f32 v12, v12, v41, -v13
	s_waitcnt lgkmcnt(3)
	v_mul_f32_e32 v13, v15, v43
	v_mul_f32_e32 v15, v15, v42
	v_fmac_f32_e32 v13, v14, v42
	v_fma_f32 v14, v14, v43, -v15
	v_mul_f32_e32 v15, v9, v45
	v_mul_f32_e32 v9, v9, v44
	v_fmac_f32_e32 v15, v8, v44
	v_fma_f32 v8, v8, v45, -v9
	s_waitcnt lgkmcnt(2)
	v_mul_f32_e32 v40, v11, v47
	v_mul_f32_e32 v9, v11, v46
	;; [unrolled: 1-line block ×4, first 2 shown]
	v_fmac_f32_e32 v11, v4, v48
	v_fma_f32 v41, v4, v49, -v5
	s_waitcnt lgkmcnt(1)
	v_mul_f32_e32 v4, v7, v51
	v_mul_f32_e32 v5, v7, v50
	v_fmac_f32_e32 v4, v6, v50
	v_fma_f32 v5, v6, v51, -v5
	v_mul_f32_e32 v6, v1, v53
	v_mul_f32_e32 v1, v1, v52
	v_fmac_f32_e32 v6, v0, v52
	v_fma_f32 v0, v0, v53, -v1
	s_waitcnt lgkmcnt(0)
	v_mul_f32_e32 v1, v3, v34
	v_mul_f32_e32 v3, v3, v33
	v_fmac_f32_e32 v1, v2, v33
	v_fma_f32 v2, v2, v34, -v3
	v_fmac_f32_e32 v40, v10, v46
	v_fma_f32 v10, v10, v47, -v9
	v_add_f32_e32 v42, v12, v2
	v_sub_f32_e32 v12, v12, v2
	v_add_f32_e32 v44, v14, v0
	v_sub_f32_e32 v14, v14, v0
	v_mul_f32_e32 v3, 0x3f248dbb, v12
	v_sub_f32_e32 v50, v10, v41
	v_add_f32_e32 v45, v15, v4
	v_sub_f32_e32 v47, v35, v1
	v_sub_f32_e32 v15, v15, v4
	v_sub_f32_e32 v48, v8, v5
	v_fmac_f32_e32 v3, 0x3f7c1c5c, v14
	v_mul_f32_e32 v4, 0xbf248dbb, v50
	v_add_f32_e32 v33, v35, v1
	v_add_f32_e32 v43, v13, v6
	v_sub_f32_e32 v13, v13, v6
	v_mul_f32_e32 v2, 0x3f248dbb, v47
	v_fmac_f32_e32 v3, 0x3f5db3d7, v48
	v_sub_f32_e32 v49, v40, v11
	v_mov_b32_e32 v0, v38
	v_mov_b32_e32 v1, v39
	v_fmac_f32_e32 v4, 0x3f7c1c5c, v12
	v_add_f32_e32 v46, v8, v5
	v_fmac_f32_e32 v2, 0x3f7c1c5c, v13
	v_fmac_f32_e32 v3, 0x3eaf1d44, v50
	v_fmac_f32_e32 v0, 0x3f441b7d, v33
	v_fmac_f32_e32 v1, 0x3f441b7d, v42
	s_mov_b32 s2, 0xbf248dbb
	v_mul_f32_e32 v5, 0xbf248dbb, v49
	v_fmac_f32_e32 v4, 0xbf5db3d7, v48
	v_add_f32_e32 v7, v50, v12
	v_mul_f32_e32 v50, 0x3f7c1c5c, v50
	v_fmac_f32_e32 v2, 0x3f5db3d7, v15
	v_fmac_f32_e32 v0, 0x3e31d0d4, v43
	;; [unrolled: 1-line block ×5, first 2 shown]
	v_sub_f32_e32 v9, v7, v14
	v_fma_f32 v14, v14, s2, -v50
	v_fmac_f32_e32 v2, 0x3eaf1d44, v49
	v_fmac_f32_e32 v0, -0.5, v45
	v_fmac_f32_e32 v1, -0.5, v46
	v_add_f32_e32 v51, v40, v11
	v_add_f32_e32 v52, v10, v41
	v_fmac_f32_e32 v5, 0xbf5db3d7, v15
	v_add_f32_e32 v6, v49, v47
	v_add_f32_e32 v62, v43, v33
	;; [unrolled: 1-line block ×3, first 2 shown]
	v_mul_f32_e32 v49, 0x3f7c1c5c, v49
	v_fmac_f32_e32 v14, 0x3f5db3d7, v48
	v_fmac_f32_e32 v0, 0xbf708fb2, v51
	;; [unrolled: 1-line block ×4, first 2 shown]
	v_sub_f32_e32 v8, v6, v13
	v_fma_f32 v49, v13, s2, -v49
	v_fmac_f32_e32 v14, 0x3eaf1d44, v12
	v_add_f32_e32 v12, v45, v62
	v_add_f32_e32 v13, v46, v65
	v_sub_f32_e32 v0, v0, v3
	v_add_f32_e32 v1, v2, v1
	v_add_f32_e32 v12, v40, v12
	;; [unrolled: 1-line block ×3, first 2 shown]
	v_fma_f32 v34, 2.0, v3, v0
	v_fma_f32 v35, -2.0, v2, v1
	v_mov_b32_e32 v2, v38
	v_mov_b32_e32 v3, v39
	v_add_f32_e32 v11, v11, v12
	v_add_f32_e32 v12, v41, v10
	v_fmac_f32_e32 v2, 0x3f441b7d, v51
	v_fmac_f32_e32 v3, 0x3f441b7d, v52
	v_add_f32_e32 v6, v45, v38
	v_add_f32_e32 v7, v46, v39
	;; [unrolled: 1-line block ×4, first 2 shown]
	v_fmac_f32_e32 v38, 0x3f441b7d, v43
	v_fmac_f32_e32 v39, 0x3f441b7d, v44
	v_fmac_f32_e32 v2, 0x3e31d0d4, v33
	v_fmac_f32_e32 v3, 0x3e31d0d4, v42
	v_fmac_f32_e32 v38, 0x3e31d0d4, v51
	v_fmac_f32_e32 v39, 0x3e31d0d4, v52
	v_fmac_f32_e32 v2, -0.5, v45
	v_fmac_f32_e32 v3, -0.5, v46
	v_add_f32_e32 v67, v51, v62
	v_add_f32_e32 v68, v52, v65
	v_fmac_f32_e32 v49, 0x3f5db3d7, v15
	v_fmac_f32_e32 v38, -0.5, v45
	v_fmac_f32_e32 v39, -0.5, v46
	v_fmac_f32_e32 v2, 0xbf708fb2, v43
	v_fmac_f32_e32 v3, 0xbf708fb2, v44
	v_fmac_f32_e32 v6, -0.5, v67
	v_fmac_f32_e32 v7, -0.5, v68
	v_fmac_f32_e32 v49, 0x3eaf1d44, v47
	v_fmac_f32_e32 v38, 0xbf708fb2, v33
	;; [unrolled: 1-line block ×3, first 2 shown]
	v_sub_f32_e32 v2, v2, v4
	v_add_f32_e32 v3, v5, v3
	v_mul_f32_e32 v53, 0x3f5db3d7, v8
	v_mul_f32_e32 v61, 0x3f5db3d7, v9
	v_fmac_f32_e32 v6, 0xbf5db3d7, v9
	v_fmac_f32_e32 v7, 0x3f5db3d7, v8
	v_sub_f32_e32 v12, v38, v14
	v_add_f32_e32 v13, v49, v39
	v_fma_f32 v4, 2.0, v4, v2
	v_fma_f32 v5, -2.0, v5, v3
	v_fma_f32 v8, 2.0, v61, v6
	v_fma_f32 v9, -2.0, v53, v7
	;; [unrolled: 2-line block ×3, first 2 shown]
	s_waitcnt lgkmcnt(0)
	; wave barrier
	ds_write2_b64 v66, v[10:11], v[0:1] offset1:11
	ds_write2_b64 v66, v[2:3], v[6:7] offset0:22 offset1:33
	ds_write2_b64 v66, v[12:13], v[14:15] offset0:44 offset1:55
	;; [unrolled: 1-line block ×3, first 2 shown]
	ds_write_b64 v66, v[34:35] offset:704
	s_waitcnt lgkmcnt(0)
	; wave barrier
	s_waitcnt lgkmcnt(0)
	ds_read2_b64 v[0:3], v63 offset1:44
	ds_read2_b64 v[12:15], v63 offset0:99 offset1:143
	ds_read2_b64 v[8:11], v63 offset0:198 offset1:242
	;; [unrolled: 1-line block ×3, first 2 shown]
	s_and_saveexec_b64 s[2:3], s[0:1]
	s_cbranch_execz .LBB0_19
; %bb.18:
	ds_read2_b64 v[34:37], v63 offset0:88 offset1:187
	ds_read2_b64 v[28:31], v32 offset0:30 offset1:129
.LBB0_19:
	s_or_b64 exec, exec, s[2:3]
	s_waitcnt lgkmcnt(2)
	v_mul_f32_e32 v33, v21, v13
	v_fmac_f32_e32 v33, v20, v12
	v_mul_f32_e32 v12, v21, v12
	v_fma_f32 v12, v20, v13, -v12
	s_waitcnt lgkmcnt(1)
	v_mul_f32_e32 v13, v23, v9
	v_fmac_f32_e32 v13, v22, v8
	v_mul_f32_e32 v8, v23, v8
	v_fma_f32 v8, v22, v9, -v8
	;; [unrolled: 5-line block ×3, first 2 shown]
	v_mul_f32_e32 v20, v25, v15
	v_mul_f32_e32 v5, v25, v14
	v_fmac_f32_e32 v20, v24, v14
	v_fma_f32 v14, v24, v15, -v5
	v_mul_f32_e32 v15, v27, v11
	v_mul_f32_e32 v5, v27, v10
	v_fmac_f32_e32 v15, v26, v10
	v_fma_f32 v10, v26, v11, -v5
	v_mul_f32_e32 v5, v60, v6
	v_mul_f32_e32 v11, v60, v7
	v_fma_f32 v21, v59, v7, -v5
	v_sub_f32_e32 v13, v0, v13
	v_sub_f32_e32 v22, v1, v8
	v_sub_f32_e32 v7, v33, v9
	v_sub_f32_e32 v8, v12, v4
	v_fmac_f32_e32 v11, v59, v6
	v_fma_f32 v5, v0, 2.0, -v13
	v_fma_f32 v6, v1, 2.0, -v22
	;; [unrolled: 1-line block ×4, first 2 shown]
	v_sub_f32_e32 v0, v5, v0
	v_sub_f32_e32 v1, v6, v1
	v_fma_f32 v4, v5, 2.0, -v0
	v_fma_f32 v5, v6, 2.0, -v1
	v_add_f32_e32 v6, v13, v8
	v_sub_f32_e32 v7, v22, v7
	v_fma_f32 v8, v13, 2.0, -v6
	v_fma_f32 v9, v22, 2.0, -v7
	v_sub_f32_e32 v15, v2, v15
	v_sub_f32_e32 v22, v3, v10
	;; [unrolled: 1-line block ×4, first 2 shown]
	v_fma_f32 v10, v2, 2.0, -v15
	v_fma_f32 v12, v3, 2.0, -v22
	;; [unrolled: 1-line block ×4, first 2 shown]
	v_sub_f32_e32 v2, v10, v2
	v_sub_f32_e32 v3, v12, v3
	v_fma_f32 v10, v10, 2.0, -v2
	v_fma_f32 v11, v12, 2.0, -v3
	v_add_f32_e32 v12, v15, v21
	v_sub_f32_e32 v13, v22, v13
	v_fma_f32 v14, v15, 2.0, -v12
	v_fma_f32 v15, v22, 2.0, -v13
	ds_write2_b64 v63, v[4:5], v[10:11] offset1:44
	ds_write2_b64 v63, v[8:9], v[14:15] offset0:99 offset1:143
	ds_write2_b64 v63, v[0:1], v[2:3] offset0:198 offset1:242
	;; [unrolled: 1-line block ×3, first 2 shown]
	s_and_saveexec_b64 s[2:3], s[0:1]
	s_cbranch_execz .LBB0_21
; %bb.20:
	v_mul_f32_e32 v0, v19, v28
	v_fma_f32 v0, v18, v29, -v0
	v_sub_f32_e32 v4, v35, v0
	v_mul_f32_e32 v6, v17, v37
	v_mul_f32_e32 v0, v56, v31
	v_fmac_f32_e32 v6, v16, v36
	v_fmac_f32_e32 v0, v55, v30
	v_sub_f32_e32 v8, v6, v0
	v_mul_f32_e32 v0, v19, v29
	v_fmac_f32_e32 v0, v18, v28
	v_sub_f32_e32 v9, v34, v0
	v_mul_f32_e32 v0, v17, v36
	v_fma_f32 v5, v16, v37, -v0
	v_mul_f32_e32 v0, v56, v30
	v_fma_f32 v0, v55, v31, -v0
	v_sub_f32_e32 v1, v4, v8
	v_sub_f32_e32 v7, v5, v0
	v_fma_f32 v3, v4, 2.0, -v1
	v_fma_f32 v4, v35, 2.0, -v4
	;; [unrolled: 1-line block ×3, first 2 shown]
	v_add_f32_e32 v0, v9, v7
	v_sub_f32_e32 v5, v4, v5
	v_fma_f32 v2, v9, 2.0, -v0
	v_fma_f32 v7, v4, 2.0, -v5
	;; [unrolled: 1-line block ×4, first 2 shown]
	v_sub_f32_e32 v4, v9, v4
	v_fma_f32 v6, v9, 2.0, -v4
	ds_write2_b64 v63, v[6:7], v[2:3] offset0:88 offset1:187
	v_add_u32_e32 v2, 0x800, v63
	ds_write2_b64 v2, v[4:5], v[0:1] offset0:30 offset1:129
.LBB0_21:
	s_or_b64 exec, exec, s[2:3]
	s_waitcnt lgkmcnt(0)
	; wave barrier
	s_waitcnt lgkmcnt(0)
	s_and_b64 exec, exec, vcc
	s_cbranch_execz .LBB0_23
; %bb.22:
	global_load_dwordx2 v[8:9], v63, s[8:9]
	global_load_dwordx2 v[10:11], v63, s[8:9] offset:288
	global_load_dwordx2 v[12:13], v63, s[8:9] offset:576
	;; [unrolled: 1-line block ×4, first 2 shown]
	ds_read_b64 v[18:19], v63
	ds_read2_b64 v[0:3], v63 offset0:36 offset1:72
	ds_read2_b64 v[4:7], v63 offset0:108 offset1:144
	global_load_dwordx2 v[24:25], v63, s[8:9] offset:1440
	global_load_dwordx2 v[26:27], v63, s[8:9] offset:1728
	v_mad_u64_u32 v[20:21], s[0:1], s6, v54, 0
	v_mad_u64_u32 v[22:23], s[2:3], s4, v64, 0
	s_mul_i32 s3, s5, 0x120
	s_mul_hi_u32 s6, s4, 0x120
	s_add_i32 s3, s6, s3
	v_mad_u64_u32 v[28:29], s[6:7], s7, v54, v[21:22]
	s_mul_i32 s2, s4, 0x120
	v_mov_b32_e32 v31, s11
	v_mov_b32_e32 v21, v28
	v_lshlrev_b64 v[20:21], 3, v[20:21]
	v_mov_b32_e32 v32, s3
	v_add_co_u32_e32 v20, vcc, s10, v20
	v_addc_co_u32_e32 v21, vcc, v31, v21, vcc
	s_mov_b32 s0, 0xa052bf5b
	s_mov_b32 s1, 0x3f64afd6
	s_waitcnt vmcnt(5) lgkmcnt(1)
	v_mul_f32_e32 v31, v1, v11
	v_mul_f32_e32 v11, v0, v11
	s_waitcnt vmcnt(3) lgkmcnt(0)
	v_mul_f32_e32 v33, v5, v15
	v_mul_f32_e32 v15, v4, v15
	s_waitcnt vmcnt(2)
	v_mul_f32_e32 v34, v7, v17
	v_mul_f32_e32 v17, v6, v17
	s_waitcnt vmcnt(1)
	v_mad_u64_u32 v[29:30], s[4:5], s5, v64, v[23:24]
	v_mov_b32_e32 v30, s3
	v_fmac_f32_e32 v31, v0, v10
	v_mov_b32_e32 v23, v29
	v_lshlrev_b64 v[22:23], 3, v[22:23]
	v_fma_f32 v10, v10, v1, -v11
	v_add_co_u32_e32 v20, vcc, v20, v22
	v_addc_co_u32_e32 v21, vcc, v21, v23, vcc
	v_add_co_u32_e32 v22, vcc, s2, v20
	v_addc_co_u32_e32 v23, vcc, v21, v30, vcc
	v_mul_f32_e32 v30, v19, v9
	v_mul_f32_e32 v9, v18, v9
	v_fmac_f32_e32 v30, v18, v8
	v_fma_f32 v18, v8, v19, -v9
	global_load_dwordx2 v[8:9], v63, s[8:9] offset:2016
	v_add_co_u32_e32 v28, vcc, s2, v22
	v_addc_co_u32_e32 v29, vcc, v23, v32, vcc
	v_mul_f32_e32 v32, v3, v13
	v_mul_f32_e32 v13, v2, v13
	v_fmac_f32_e32 v32, v2, v12
	v_fma_f32 v12, v12, v3, -v13
	v_cvt_f64_f32_e32 v[0:1], v30
	v_cvt_f64_f32_e32 v[2:3], v18
	v_fmac_f32_e32 v33, v4, v14
	v_fma_f32 v19, v14, v5, -v15
	v_fmac_f32_e32 v34, v6, v16
	v_fma_f32 v35, v16, v7, -v17
	v_cvt_f64_f32_e32 v[4:5], v31
	global_load_dwordx2 v[30:31], v63, s[8:9] offset:2304
	v_cvt_f64_f32_e32 v[6:7], v10
	v_cvt_f64_f32_e32 v[10:11], v32
	;; [unrolled: 1-line block ×3, first 2 shown]
	v_mul_f64 v[0:1], v[0:1], s[0:1]
	v_mul_f64 v[2:3], v[2:3], s[0:1]
	;; [unrolled: 1-line block ×6, first 2 shown]
	v_cvt_f64_f32_e32 v[14:15], v33
	v_cvt_f64_f32_e32 v[16:17], v19
	v_cvt_f32_f64_e32 v0, v[0:1]
	v_cvt_f32_f64_e32 v1, v[2:3]
	;; [unrolled: 1-line block ×4, first 2 shown]
	v_cvt_f64_f32_e32 v[18:19], v34
	v_cvt_f32_f64_e32 v4, v[10:11]
	v_cvt_f32_f64_e32 v5, v[12:13]
	v_mul_f64 v[14:15], v[14:15], s[0:1]
	v_mul_f64 v[16:17], v[16:17], s[0:1]
	global_store_dwordx2 v[20:21], v[0:1], off
	global_store_dwordx2 v[22:23], v[2:3], off
	;; [unrolled: 1-line block ×3, first 2 shown]
	v_cvt_f64_f32_e32 v[0:1], v35
	v_mul_f64 v[4:5], v[18:19], s[0:1]
	global_load_dwordx2 v[10:11], v63, s[8:9] offset:2592
	v_mov_b32_e32 v18, s3
	v_mul_f64 v[12:13], v[0:1], s[0:1]
	ds_read2_b64 v[0:3], v63 offset0:180 offset1:216
	v_cvt_f32_f64_e32 v6, v[14:15]
	v_cvt_f32_f64_e32 v7, v[16:17]
	v_mov_b32_e32 v15, s3
	v_add_co_u32_e32 v14, vcc, s2, v28
	v_cvt_f32_f64_e32 v4, v[4:5]
	s_waitcnt lgkmcnt(0)
	v_mul_f32_e32 v5, v1, v25
	v_addc_co_u32_e32 v15, vcc, v29, v15, vcc
	v_fmac_f32_e32 v5, v0, v24
	global_store_dwordx2 v[14:15], v[6:7], off
	v_cvt_f64_f32_e32 v[6:7], v5
	v_cvt_f32_f64_e32 v5, v[12:13]
	global_load_dwordx2 v[12:13], v63, s[8:9] offset:2880
	v_mul_f32_e32 v0, v0, v25
	v_fma_f32 v0, v24, v1, -v0
	v_cvt_f64_f32_e32 v[0:1], v0
	v_mov_b32_e32 v16, s3
	v_mul_f64 v[6:7], v[6:7], s[0:1]
	v_add_co_u32_e32 v14, vcc, s2, v14
	v_mul_f64 v[0:1], v[0:1], s[0:1]
	v_addc_co_u32_e32 v15, vcc, v15, v16, vcc
	global_store_dwordx2 v[14:15], v[4:5], off
	s_waitcnt vmcnt(9)
	v_mul_f32_e32 v5, v3, v27
	v_fmac_f32_e32 v5, v2, v26
	v_mul_f32_e32 v2, v2, v27
	v_fma_f32 v2, v26, v3, -v2
	v_cvt_f64_f32_e32 v[2:3], v2
	v_cvt_f32_f64_e32 v4, v[6:7]
	v_cvt_f64_f32_e32 v[6:7], v5
	v_cvt_f32_f64_e32 v5, v[0:1]
	v_add_u32_e32 v0, 0x400, v63
	v_mul_f64 v[16:17], v[2:3], s[0:1]
	ds_read2_b64 v[0:3], v0 offset0:124 offset1:160
	v_add_co_u32_e32 v14, vcc, s2, v14
	v_addc_co_u32_e32 v15, vcc, v15, v18, vcc
	global_store_dwordx2 v[14:15], v[4:5], off
	s_waitcnt vmcnt(9) lgkmcnt(0)
	v_mul_f32_e32 v4, v1, v9
	v_fmac_f32_e32 v4, v0, v8
	v_cvt_f64_f32_e32 v[4:5], v4
	v_mul_f64 v[6:7], v[6:7], s[0:1]
	v_mul_f32_e32 v0, v0, v9
	v_fma_f32 v0, v8, v1, -v0
	v_mul_f64 v[4:5], v[4:5], s[0:1]
	v_cvt_f64_f32_e32 v[0:1], v0
	v_add_co_u32_e32 v8, vcc, s2, v14
	v_cvt_f32_f64_e32 v6, v[6:7]
	v_cvt_f32_f64_e32 v7, v[16:17]
	v_mul_f64 v[0:1], v[0:1], s[0:1]
	v_mov_b32_e32 v16, s3
	v_cvt_f32_f64_e32 v4, v[4:5]
	s_waitcnt vmcnt(8)
	v_mul_f32_e32 v5, v3, v31
	v_addc_co_u32_e32 v9, vcc, v15, v16, vcc
	v_fmac_f32_e32 v5, v2, v30
	global_store_dwordx2 v[8:9], v[6:7], off
	v_cvt_f64_f32_e32 v[6:7], v5
	v_mul_f32_e32 v2, v2, v31
	v_fma_f32 v2, v30, v3, -v2
	v_cvt_f64_f32_e32 v[2:3], v2
	v_mul_f64 v[6:7], v[6:7], s[0:1]
	v_cvt_f32_f64_e32 v5, v[0:1]
	v_mov_b32_e32 v0, s3
	v_add_co_u32_e32 v8, vcc, s2, v8
	v_addc_co_u32_e32 v9, vcc, v9, v0, vcc
	v_add_u32_e32 v0, 0x800, v63
	v_mul_f64 v[14:15], v[2:3], s[0:1]
	ds_read2_b64 v[0:3], v0 offset0:68 offset1:104
	global_store_dwordx2 v[8:9], v[4:5], off
	v_cvt_f32_f64_e32 v4, v[6:7]
	v_add_co_u32_e32 v8, vcc, s2, v8
	s_waitcnt vmcnt(6) lgkmcnt(0)
	v_mul_f32_e32 v6, v1, v11
	v_fmac_f32_e32 v6, v0, v10
	v_mul_f32_e32 v0, v0, v11
	v_fma_f32 v0, v10, v1, -v0
	v_cvt_f32_f64_e32 v5, v[14:15]
	v_cvt_f64_f32_e32 v[6:7], v6
	v_cvt_f64_f32_e32 v[0:1], v0
	v_mov_b32_e32 v14, s3
	v_addc_co_u32_e32 v9, vcc, v9, v14, vcc
	global_store_dwordx2 v[8:9], v[4:5], off
	v_mul_f64 v[4:5], v[6:7], s[0:1]
	v_mul_f64 v[0:1], v[0:1], s[0:1]
	s_waitcnt vmcnt(5)
	v_mul_f32_e32 v6, v3, v13
	v_fmac_f32_e32 v6, v2, v12
	v_mul_f32_e32 v2, v2, v13
	v_fma_f32 v2, v12, v3, -v2
	v_cvt_f64_f32_e32 v[6:7], v6
	v_cvt_f64_f32_e32 v[2:3], v2
	v_cvt_f32_f64_e32 v4, v[4:5]
	v_cvt_f32_f64_e32 v5, v[0:1]
	v_mul_f64 v[0:1], v[6:7], s[0:1]
	v_mul_f64 v[2:3], v[2:3], s[0:1]
	v_mov_b32_e32 v7, s3
	v_add_co_u32_e32 v6, vcc, s2, v8
	v_addc_co_u32_e32 v7, vcc, v9, v7, vcc
	global_store_dwordx2 v[6:7], v[4:5], off
	v_cvt_f32_f64_e32 v0, v[0:1]
	v_cvt_f32_f64_e32 v1, v[2:3]
	v_mov_b32_e32 v3, s3
	v_add_co_u32_e32 v2, vcc, s2, v6
	v_addc_co_u32_e32 v3, vcc, v7, v3, vcc
	global_store_dwordx2 v[2:3], v[0:1], off
.LBB0_23:
	s_endpgm
	.section	.rodata,"a",@progbits
	.p2align	6, 0x0
	.amdhsa_kernel bluestein_single_fwd_len396_dim1_sp_op_CI_CI
		.amdhsa_group_segment_fixed_size 3168
		.amdhsa_private_segment_fixed_size 0
		.amdhsa_kernarg_size 104
		.amdhsa_user_sgpr_count 6
		.amdhsa_user_sgpr_private_segment_buffer 1
		.amdhsa_user_sgpr_dispatch_ptr 0
		.amdhsa_user_sgpr_queue_ptr 0
		.amdhsa_user_sgpr_kernarg_segment_ptr 1
		.amdhsa_user_sgpr_dispatch_id 0
		.amdhsa_user_sgpr_flat_scratch_init 0
		.amdhsa_user_sgpr_private_segment_size 0
		.amdhsa_uses_dynamic_stack 0
		.amdhsa_system_sgpr_private_segment_wavefront_offset 0
		.amdhsa_system_sgpr_workgroup_id_x 1
		.amdhsa_system_sgpr_workgroup_id_y 0
		.amdhsa_system_sgpr_workgroup_id_z 0
		.amdhsa_system_sgpr_workgroup_info 0
		.amdhsa_system_vgpr_workitem_id 0
		.amdhsa_next_free_vgpr 152
		.amdhsa_next_free_sgpr 17
		.amdhsa_reserve_vcc 1
		.amdhsa_reserve_flat_scratch 0
		.amdhsa_float_round_mode_32 0
		.amdhsa_float_round_mode_16_64 0
		.amdhsa_float_denorm_mode_32 3
		.amdhsa_float_denorm_mode_16_64 3
		.amdhsa_dx10_clamp 1
		.amdhsa_ieee_mode 1
		.amdhsa_fp16_overflow 0
		.amdhsa_exception_fp_ieee_invalid_op 0
		.amdhsa_exception_fp_denorm_src 0
		.amdhsa_exception_fp_ieee_div_zero 0
		.amdhsa_exception_fp_ieee_overflow 0
		.amdhsa_exception_fp_ieee_underflow 0
		.amdhsa_exception_fp_ieee_inexact 0
		.amdhsa_exception_int_div_zero 0
	.end_amdhsa_kernel
	.text
.Lfunc_end0:
	.size	bluestein_single_fwd_len396_dim1_sp_op_CI_CI, .Lfunc_end0-bluestein_single_fwd_len396_dim1_sp_op_CI_CI
                                        ; -- End function
	.section	.AMDGPU.csdata,"",@progbits
; Kernel info:
; codeLenInByte = 10212
; NumSgprs: 21
; NumVgprs: 152
; ScratchSize: 0
; MemoryBound: 0
; FloatMode: 240
; IeeeMode: 1
; LDSByteSize: 3168 bytes/workgroup (compile time only)
; SGPRBlocks: 2
; VGPRBlocks: 37
; NumSGPRsForWavesPerEU: 21
; NumVGPRsForWavesPerEU: 152
; Occupancy: 1
; WaveLimiterHint : 1
; COMPUTE_PGM_RSRC2:SCRATCH_EN: 0
; COMPUTE_PGM_RSRC2:USER_SGPR: 6
; COMPUTE_PGM_RSRC2:TRAP_HANDLER: 0
; COMPUTE_PGM_RSRC2:TGID_X_EN: 1
; COMPUTE_PGM_RSRC2:TGID_Y_EN: 0
; COMPUTE_PGM_RSRC2:TGID_Z_EN: 0
; COMPUTE_PGM_RSRC2:TIDIG_COMP_CNT: 0
	.type	__hip_cuid_23e9463180746c94,@object ; @__hip_cuid_23e9463180746c94
	.section	.bss,"aw",@nobits
	.globl	__hip_cuid_23e9463180746c94
__hip_cuid_23e9463180746c94:
	.byte	0                               ; 0x0
	.size	__hip_cuid_23e9463180746c94, 1

	.ident	"AMD clang version 19.0.0git (https://github.com/RadeonOpenCompute/llvm-project roc-6.4.0 25133 c7fe45cf4b819c5991fe208aaa96edf142730f1d)"
	.section	".note.GNU-stack","",@progbits
	.addrsig
	.addrsig_sym __hip_cuid_23e9463180746c94
	.amdgpu_metadata
---
amdhsa.kernels:
  - .args:
      - .actual_access:  read_only
        .address_space:  global
        .offset:         0
        .size:           8
        .value_kind:     global_buffer
      - .actual_access:  read_only
        .address_space:  global
        .offset:         8
        .size:           8
        .value_kind:     global_buffer
      - .actual_access:  read_only
        .address_space:  global
        .offset:         16
        .size:           8
        .value_kind:     global_buffer
      - .actual_access:  read_only
        .address_space:  global
        .offset:         24
        .size:           8
        .value_kind:     global_buffer
      - .actual_access:  read_only
        .address_space:  global
        .offset:         32
        .size:           8
        .value_kind:     global_buffer
      - .offset:         40
        .size:           8
        .value_kind:     by_value
      - .address_space:  global
        .offset:         48
        .size:           8
        .value_kind:     global_buffer
      - .address_space:  global
        .offset:         56
        .size:           8
        .value_kind:     global_buffer
      - .address_space:  global
        .offset:         64
        .size:           8
        .value_kind:     global_buffer
      - .address_space:  global
        .offset:         72
        .size:           8
        .value_kind:     global_buffer
      - .offset:         80
        .size:           4
        .value_kind:     by_value
      - .address_space:  global
        .offset:         88
        .size:           8
        .value_kind:     global_buffer
      - .address_space:  global
        .offset:         96
        .size:           8
        .value_kind:     global_buffer
    .group_segment_fixed_size: 3168
    .kernarg_segment_align: 8
    .kernarg_segment_size: 104
    .language:       OpenCL C
    .language_version:
      - 2
      - 0
    .max_flat_workgroup_size: 44
    .name:           bluestein_single_fwd_len396_dim1_sp_op_CI_CI
    .private_segment_fixed_size: 0
    .sgpr_count:     21
    .sgpr_spill_count: 0
    .symbol:         bluestein_single_fwd_len396_dim1_sp_op_CI_CI.kd
    .uniform_work_group_size: 1
    .uses_dynamic_stack: false
    .vgpr_count:     152
    .vgpr_spill_count: 0
    .wavefront_size: 64
amdhsa.target:   amdgcn-amd-amdhsa--gfx906
amdhsa.version:
  - 1
  - 2
...

	.end_amdgpu_metadata
